;; amdgpu-corpus repo=ROCm/rocFFT kind=compiled arch=gfx950 opt=O3
	.text
	.amdgcn_target "amdgcn-amd-amdhsa--gfx950"
	.amdhsa_code_object_version 6
	.protected	fft_rtc_back_len243_factors_3_3_3_3_3_wgs_216_tpt_27_sp_op_CI_CI_sbrc_unaligned_dirReg ; -- Begin function fft_rtc_back_len243_factors_3_3_3_3_3_wgs_216_tpt_27_sp_op_CI_CI_sbrc_unaligned_dirReg
	.globl	fft_rtc_back_len243_factors_3_3_3_3_3_wgs_216_tpt_27_sp_op_CI_CI_sbrc_unaligned_dirReg
	.p2align	8
	.type	fft_rtc_back_len243_factors_3_3_3_3_3_wgs_216_tpt_27_sp_op_CI_CI_sbrc_unaligned_dirReg,@function
fft_rtc_back_len243_factors_3_3_3_3_3_wgs_216_tpt_27_sp_op_CI_CI_sbrc_unaligned_dirReg: ; @fft_rtc_back_len243_factors_3_3_3_3_3_wgs_216_tpt_27_sp_op_CI_CI_sbrc_unaligned_dirReg
; %bb.0:
	s_load_dwordx8 s[4:11], s[0:1], 0x0
	s_mov_b32 s30, 0
	s_mov_b32 s28, 3
	s_mov_b64 s[34:35], 2
	s_mov_b32 s40, s30
	s_waitcnt lgkmcnt(0)
	s_load_dword s33, s[8:9], 0x8
	s_load_dwordx4 s[16:19], s[0:1], 0x58
	s_load_dwordx2 s[26:27], s[0:1], 0x20
	s_load_dwordx4 s[20:23], s[10:11], 0x0
	v_cmp_gt_u64_e64 s[0:1], s[6:7], 2
	s_waitcnt lgkmcnt(0)
	s_add_i32 s3, s33, -1
	s_lshr_b32 s3, s3, 3
	s_add_i32 s3, s3, 1
	v_cvt_f32_u32_e32 v1, s3
	s_load_dwordx4 s[12:15], s[26:27], 0x0
	s_waitcnt lgkmcnt(0)
	s_sub_i32 s15, 0, s3
	v_rcp_iflag_f32_e32 v1, v1
	s_nop 0
	v_mul_f32_e32 v1, 0x4f7ffffe, v1
	v_cvt_u32_f32_e32 v1, v1
	s_nop 0
	v_readfirstlane_b32 s23, v1
	s_mul_i32 s15, s15, s23
	s_mul_hi_u32 s15, s23, s15
	s_add_i32 s23, s23, s15
	s_mul_hi_u32 s15, s2, s23
	s_mul_i32 s23, s15, s3
	s_sub_i32 s23, s2, s23
	s_add_i32 s24, s15, 1
	s_sub_i32 s25, s23, s3
	s_cmp_ge_u32 s23, s3
	s_cselect_b32 s15, s24, s15
	s_cselect_b32 s23, s25, s23
	s_add_i32 s24, s15, 1
	s_cmp_ge_u32 s23, s3
	s_cselect_b32 s15, s24, s15
	s_mul_i32 s23, s15, s3
	s_sub_i32 s23, s2, s23
	s_lshl_b32 s23, s23, 3
	s_mul_i32 s25, s13, s23
	s_mul_hi_u32 s29, s12, s23
	s_mul_i32 s41, s23, s22
	s_mul_i32 s24, s12, s23
	s_add_i32 s25, s29, s25
	s_and_b64 vcc, exec, s[0:1]
	s_cbranch_vccz .LBB0_9
; %bb.1:
	v_mov_b64_e32 v[2:3], s[6:7]
.LBB0_2:                                ; =>This Inner Loop Header: Depth=1
	s_lshl_b64 s[34:35], s[34:35], 3
	s_add_u32 s0, s8, s34
	s_addc_u32 s1, s9, s35
	s_load_dwordx2 s[36:37], s[0:1], 0x0
	s_waitcnt lgkmcnt(0)
	s_mov_b32 s31, s37
	s_cmp_lg_u64 s[30:31], 0
	s_cbranch_scc0 .LBB0_7
; %bb.3:                                ;   in Loop: Header=BB0_2 Depth=1
	v_cvt_f32_u32_e32 v1, s36
	v_cvt_f32_u32_e32 v4, s37
	s_sub_u32 s0, 0, s36
	s_subb_u32 s1, 0, s37
	v_fmac_f32_e32 v1, 0x4f800000, v4
	v_rcp_f32_e32 v1, v1
	s_nop 0
	v_mul_f32_e32 v1, 0x5f7ffffc, v1
	v_mul_f32_e32 v4, 0x2f800000, v1
	v_trunc_f32_e32 v4, v4
	v_fmac_f32_e32 v1, 0xcf800000, v4
	v_cvt_u32_f32_e32 v4, v4
	v_cvt_u32_f32_e32 v1, v1
	v_readfirstlane_b32 s29, v4
	v_readfirstlane_b32 s31, v1
	s_mul_i32 s38, s0, s29
	s_mul_hi_u32 s42, s0, s31
	s_mul_i32 s39, s1, s31
	s_add_i32 s38, s42, s38
	s_mul_i32 s43, s0, s31
	s_add_i32 s38, s38, s39
	s_mul_hi_u32 s39, s31, s38
	s_mul_i32 s42, s31, s38
	s_mul_hi_u32 s31, s31, s43
	s_add_u32 s31, s31, s42
	s_addc_u32 s39, 0, s39
	s_mul_hi_u32 s44, s29, s43
	s_mul_i32 s43, s29, s43
	s_add_u32 s31, s31, s43
	s_mul_hi_u32 s42, s29, s38
	s_addc_u32 s31, s39, s44
	s_addc_u32 s39, s42, 0
	s_mul_i32 s38, s29, s38
	s_add_u32 s31, s31, s38
	s_addc_u32 s38, 0, s39
	v_add_co_u32_e32 v1, vcc, s31, v1
	s_cmp_lg_u64 vcc, 0
	s_addc_u32 s29, s29, s38
	v_readfirstlane_b32 s38, v1
	s_mul_i32 s31, s0, s29
	s_mul_hi_u32 s39, s0, s38
	s_add_i32 s31, s39, s31
	s_mul_i32 s1, s1, s38
	s_add_i32 s31, s31, s1
	s_mul_i32 s0, s0, s38
	s_mul_hi_u32 s39, s29, s0
	s_mul_i32 s42, s29, s0
	s_mul_i32 s44, s38, s31
	s_mul_hi_u32 s0, s38, s0
	s_mul_hi_u32 s43, s38, s31
	s_add_u32 s0, s0, s44
	s_addc_u32 s38, 0, s43
	s_add_u32 s0, s0, s42
	s_mul_hi_u32 s1, s29, s31
	s_addc_u32 s0, s38, s39
	s_addc_u32 s1, s1, 0
	s_mul_i32 s31, s29, s31
	s_add_u32 s0, s0, s31
	s_addc_u32 s1, 0, s1
	v_add_co_u32_e32 v1, vcc, s0, v1
	s_cmp_lg_u64 vcc, 0
	s_addc_u32 s0, s29, s1
	v_readfirstlane_b32 s29, v1
	s_mul_hi_u32 s1, s15, s0
	s_mul_i32 s0, s15, s0
	s_mul_hi_u32 s29, s15, s29
	s_add_u32 s0, s29, s0
	s_addc_u32 s29, 0, s1
	s_mul_i32 s0, s37, s29
	s_mul_hi_u32 s1, s36, s29
	s_add_i32 s31, s1, s0
	s_mul_i32 s1, s36, s29
	v_mov_b32_e32 v1, s1
	s_sub_i32 s0, 0, s31
	v_sub_co_u32_e32 v1, vcc, s15, v1
	s_cmp_lg_u64 vcc, 0
	s_subb_u32 s38, s0, s37
	v_subrev_co_u32_e64 v4, s[0:1], s36, v1
	s_cmp_lg_u64 s[0:1], 0
	s_subb_u32 s0, s38, 0
	s_cmp_ge_u32 s0, s37
	v_readfirstlane_b32 s38, v4
	s_cselect_b32 s1, -1, 0
	s_cmp_ge_u32 s38, s36
	s_cselect_b32 s38, -1, 0
	s_cmp_eq_u32 s0, s37
	s_cselect_b32 s0, s38, s1
	s_add_u32 s1, s29, 1
	s_addc_u32 s38, 0, 0
	s_add_u32 s39, s29, 2
	s_addc_u32 s42, 0, 0
	s_cmp_lg_u32 s0, 0
	s_cselect_b32 s0, s39, s1
	s_cselect_b32 s1, s42, s38
	s_cmp_lg_u64 vcc, 0
	s_subb_u32 s31, 0, s31
	s_cmp_ge_u32 s31, s37
	v_readfirstlane_b32 s39, v1
	s_cselect_b32 s38, -1, 0
	s_cmp_ge_u32 s39, s36
	s_cselect_b32 s39, -1, 0
	s_cmp_eq_u32 s31, s37
	s_cselect_b32 s31, s39, s38
	s_cmp_lg_u32 s31, 0
	s_cselect_b32 s1, s1, 0
	s_cselect_b32 s0, s0, s29
	s_cbranch_execnz .LBB0_5
.LBB0_4:                                ;   in Loop: Header=BB0_2 Depth=1
	v_cvt_f32_u32_e32 v1, s36
	s_sub_i32 s0, 0, s36
	v_rcp_iflag_f32_e32 v1, v1
	s_nop 0
	v_mul_f32_e32 v1, 0x4f7ffffe, v1
	v_cvt_u32_f32_e32 v1, v1
	s_nop 0
	v_readfirstlane_b32 s1, v1
	s_mul_i32 s0, s0, s1
	s_mul_hi_u32 s0, s1, s0
	s_add_i32 s1, s1, s0
	s_mul_hi_u32 s0, s15, s1
	s_mul_i32 s29, s0, s36
	s_sub_i32 s29, s15, s29
	s_add_i32 s1, s0, 1
	s_sub_i32 s31, s29, s36
	s_cmp_ge_u32 s29, s36
	s_cselect_b32 s0, s1, s0
	s_cselect_b32 s29, s31, s29
	s_add_i32 s1, s0, 1
	s_cmp_ge_u32 s29, s36
	s_cselect_b32 s0, s1, s0
	s_mov_b32 s1, s30
.LBB0_5:                                ;   in Loop: Header=BB0_2 Depth=1
	s_mul_i32 s29, s0, s37
	s_mul_hi_u32 s31, s0, s36
	s_add_i32 s29, s31, s29
	s_mul_i32 s1, s1, s36
	s_add_i32 s29, s29, s1
	s_mul_i32 s1, s0, s36
	s_sub_u32 s1, s15, s1
	s_subb_u32 s15, 0, s29
	s_add_u32 s38, s10, s34
	s_addc_u32 s39, s11, s35
	s_load_dwordx2 s[38:39], s[38:39], 0x0
	s_mul_i32 s3, s3, s36
	s_waitcnt lgkmcnt(0)
	s_mul_i32 s29, s38, s15
	s_mul_hi_u32 s31, s38, s1
	s_add_i32 s29, s31, s29
	s_mul_i32 s31, s39, s1
	s_add_i32 s29, s29, s31
	s_mul_i32 s31, s38, s1
	s_add_u32 s41, s31, s41
	s_addc_u32 s40, s29, s40
	s_add_u32 s34, s26, s34
	s_addc_u32 s35, s27, s35
	s_load_dwordx2 s[34:35], s[34:35], 0x0
	s_waitcnt lgkmcnt(0)
	s_mul_i32 s15, s34, s15
	s_mul_hi_u32 s29, s34, s1
	s_add_i32 s15, s29, s15
	s_mul_i32 s29, s35, s1
	s_add_i32 s15, s15, s29
	s_mul_i32 s1, s34, s1
	s_mov_b32 s29, s30
	s_add_u32 s24, s1, s24
	v_cmp_ge_u64_e32 vcc, s[28:29], v[2:3]
	s_addc_u32 s25, s15, s25
	s_mov_b64 s[34:35], s[28:29]
	s_add_i32 s28, s28, 1
	s_cbranch_vccnz .LBB0_8
; %bb.6:                                ;   in Loop: Header=BB0_2 Depth=1
	s_mov_b32 s15, s0
	s_branch .LBB0_2
.LBB0_7:                                ;   in Loop: Header=BB0_2 Depth=1
                                        ; implicit-def: $sgpr0_sgpr1
	s_branch .LBB0_4
.LBB0_8:
	v_cvt_f32_u32_e32 v1, s3
	s_sub_i32 s0, 0, s3
	v_rcp_iflag_f32_e32 v1, v1
	s_nop 0
	v_mul_f32_e32 v1, 0x4f7ffffe, v1
	v_cvt_u32_f32_e32 v1, v1
	s_nop 0
	v_readfirstlane_b32 s1, v1
	s_mul_i32 s0, s0, s1
	s_mul_hi_u32 s0, s1, s0
	s_add_i32 s1, s1, s0
	s_mul_hi_u32 s0, s2, s1
	s_mul_i32 s1, s0, s3
	s_sub_i32 s1, s2, s1
	s_add_i32 s8, s0, 1
	s_sub_i32 s2, s1, s3
	s_cmp_ge_u32 s1, s3
	s_cselect_b32 s0, s8, s0
	s_cselect_b32 s1, s2, s1
	s_add_i32 s2, s0, 1
	s_cmp_ge_u32 s1, s3
	s_cselect_b32 s15, s2, s0
.LBB0_9:
	s_lshl_b64 s[0:1], s[6:7], 3
	s_add_u32 s2, s10, s0
	s_addc_u32 s3, s11, s1
	s_load_dwordx2 s[2:3], s[2:3], 0x0
	s_mov_b64 s[8:9], -1
	s_waitcnt lgkmcnt(0)
	s_mul_i32 s3, s3, s15
	s_mul_hi_u32 s6, s2, s15
	s_mul_i32 s2, s2, s15
	s_add_i32 s3, s6, s3
	s_add_u32 s6, s2, s41
	s_addc_u32 s7, s3, s40
	s_add_u32 s0, s26, s0
	s_addc_u32 s1, s27, s1
	s_load_dwordx2 s[0:1], s[0:1], 0x0
	s_add_i32 s2, s23, 8
	s_cmp_le_u32 s2, s33
	s_cselect_b64 s[2:3], -1, 0
	s_and_b64 vcc, exec, s[2:3]
	s_cbranch_vccnz .LBB0_13
; %bb.10:
	s_lshl_b64 s[8:9], s[6:7], 3
	s_add_u32 s8, s16, s8
	s_addc_u32 s9, s17, s9
	s_mov_b64 s[10:11], 0
	s_movk_i32 s26, 0xdb3
	v_mov_b32_e32 v3, 0
	s_movk_i32 s27, 0x797
	v_mov_b32_e32 v1, v0
.LBB0_11:                               ; =>This Inner Loop Header: Depth=1
	v_mul_u32_u24_sdwa v2, v1, s26 dst_sel:DWORD dst_unused:UNUSED_PAD src0_sel:WORD_0 src1_sel:DWORD
	v_sub_u16_sdwa v4, v1, v2 dst_sel:DWORD dst_unused:UNUSED_PAD src0_sel:DWORD src1_sel:WORD_1
	v_lshrrev_b16_e32 v4, 1, v4
	v_add_u16_sdwa v2, v4, v2 dst_sel:DWORD dst_unused:UNUSED_PAD src0_sel:DWORD src1_sel:WORD_1
	v_lshrrev_b16_e32 v8, 7, v2
	v_mul_lo_u16_e32 v4, 0xf3, v8
	v_sub_u16_e32 v9, v1, v4
	v_mad_u64_u32 v[4:5], s[28:29], s20, v9, 0
	v_mov_b32_e32 v6, v5
	v_mad_u64_u32 v[6:7], s[28:29], s21, v9, v[6:7]
	v_mov_b32_e32 v5, v6
	v_mul_lo_u32 v2, s22, v8
	v_lshl_add_u64 v[4:5], v[4:5], 3, s[8:9]
	v_lshl_add_u64 v[4:5], v[2:3], 3, v[4:5]
	global_load_dwordx2 v[4:5], v[4:5], off
	v_add_u32_e32 v1, 0xd8, v1
	v_lshlrev_b16_e32 v2, 3, v9
	v_cmp_lt_u32_e32 vcc, s27, v1
	v_add_u16_e32 v2, v2, v8
	s_or_b64 s[10:11], vcc, s[10:11]
	v_lshl_add_u32 v2, v2, 3, 0
	s_waitcnt vmcnt(0)
	ds_write_b64 v2, v[4:5]
	s_andn2_b64 exec, exec, s[10:11]
	s_cbranch_execnz .LBB0_11
; %bb.12:
	s_or_b64 exec, exec, s[10:11]
	s_mov_b64 s[8:9], 0
.LBB0_13:
	s_and_b64 vcc, exec, s[8:9]
	s_cbranch_vccz .LBB0_15
; %bb.14:
	v_mul_u32_u24_e32 v1, 0x10e, v0
	v_lshrrev_b32_e32 v1, 16, v1
	v_mul_lo_u16_e32 v2, 0xf3, v1
	v_sub_u16_e32 v28, v0, v2
	v_mad_u64_u32 v[2:3], s[8:9], s20, v28, 0
	v_mov_b32_e32 v4, v3
	s_lshl_b64 s[6:7], s[6:7], 3
	v_mad_u64_u32 v[4:5], s[8:9], s21, v28, v[4:5]
	s_add_u32 s6, s16, s6
	v_mov_b32_e32 v3, v4
	s_addc_u32 s7, s17, s7
	v_mul_lo_u32 v4, s22, v1
	v_mov_b32_e32 v5, 0
	v_lshl_add_u64 v[2:3], v[2:3], 3, s[6:7]
	v_lshl_add_u64 v[2:3], v[4:5], 3, v[2:3]
	v_add_u16_e32 v4, 0xd8, v0
	v_mul_u32_u24_e32 v6, 0x10e, v4
	v_lshrrev_b32_e32 v29, 16, v6
	v_mul_lo_u16_e32 v6, 0xf3, v29
	v_sub_u16_e32 v30, v4, v6
	v_mad_u64_u32 v[6:7], s[8:9], s20, v30, 0
	v_mov_b32_e32 v4, v7
	v_mad_u64_u32 v[8:9], s[8:9], s21, v30, v[4:5]
	v_mov_b32_e32 v7, v8
	v_mul_lo_u32 v4, s22, v29
	v_lshl_add_u64 v[6:7], v[6:7], 3, s[6:7]
	v_lshl_add_u64 v[6:7], v[4:5], 3, v[6:7]
	v_add_u16_e32 v4, 0x1b0, v0
	v_mul_u32_u24_e32 v8, 0x437, v4
	v_lshrrev_b32_e32 v31, 18, v8
	v_mul_lo_u16_e32 v8, 0xf3, v31
	v_sub_u16_e32 v32, v4, v8
	v_mad_u64_u32 v[8:9], s[8:9], s20, v32, 0
	v_mov_b32_e32 v4, v9
	v_mad_u64_u32 v[10:11], s[8:9], s21, v32, v[4:5]
	v_mov_b32_e32 v9, v10
	v_mul_lo_u32 v4, s22, v31
	;; [unrolled: 12-line block ×3, first 2 shown]
	v_lshl_add_u64 v[10:11], v[10:11], 3, s[6:7]
	v_lshl_add_u64 v[10:11], v[4:5], 3, v[10:11]
	global_load_dwordx2 v[12:13], v[2:3], off
	global_load_dwordx2 v[14:15], v[6:7], off
	;; [unrolled: 1-line block ×4, first 2 shown]
	v_add_u16_e32 v2, 0x360, v0
	v_mul_u32_u24_e32 v3, 0x437, v2
	v_lshrrev_b32_e32 v35, 18, v3
	v_mul_lo_u16_e32 v3, 0xf3, v35
	v_sub_u16_e32 v36, v2, v3
	v_mad_u64_u32 v[2:3], s[8:9], s20, v36, 0
	v_mov_b32_e32 v4, v3
	v_mad_u64_u32 v[6:7], s[8:9], s21, v36, v[4:5]
	v_mov_b32_e32 v3, v6
	v_mul_lo_u32 v4, s22, v35
	v_lshl_add_u64 v[2:3], v[2:3], 3, s[6:7]
	v_lshl_add_u64 v[2:3], v[4:5], 3, v[2:3]
	v_add_u16_e32 v4, 0x438, v0
	v_mul_u32_u24_e32 v6, 0x437, v4
	v_lshrrev_b32_e32 v37, 18, v6
	v_mul_lo_u16_e32 v6, 0xf3, v37
	v_sub_u16_e32 v38, v4, v6
	v_mad_u64_u32 v[6:7], s[8:9], s20, v38, 0
	v_mov_b32_e32 v4, v7
	v_mad_u64_u32 v[8:9], s[8:9], s21, v38, v[4:5]
	v_mov_b32_e32 v7, v8
	v_mul_lo_u32 v4, s22, v37
	v_lshl_add_u64 v[6:7], v[6:7], 3, s[6:7]
	v_lshl_add_u64 v[6:7], v[4:5], 3, v[6:7]
	;; [unrolled: 12-line block ×4, first 2 shown]
	global_load_dwordx2 v[20:21], v[2:3], off
	global_load_dwordx2 v[22:23], v[6:7], off
	;; [unrolled: 1-line block ×4, first 2 shown]
	v_add_u16_e32 v2, 0x6c0, v0
	v_mul_u32_u24_e32 v3, 0x437, v2
	v_lshrrev_b32_e32 v8, 18, v3
	v_mul_lo_u16_e32 v3, 0xf3, v8
	v_sub_u16_e32 v9, v2, v3
	v_mad_u64_u32 v[2:3], s[8:9], s20, v9, 0
	v_mov_b32_e32 v4, v3
	v_mad_u64_u32 v[6:7], s[8:9], s21, v9, v[4:5]
	v_mov_b32_e32 v3, v6
	v_mul_lo_u32 v4, s22, v8
	v_lshl_add_u64 v[2:3], v[2:3], 3, s[6:7]
	v_lshl_add_u64 v[2:3], v[4:5], 3, v[2:3]
	global_load_dwordx2 v[2:3], v[2:3], off
	v_lshlrev_b16_e32 v4, 3, v28
	v_or_b32_e32 v1, v4, v1
	v_and_b32_e32 v1, 0xffff, v1
	v_lshl_add_u32 v1, v1, 3, 0
	s_waitcnt vmcnt(8)
	ds_write_b64 v1, v[12:13]
	v_lshlrev_b16_e32 v1, 3, v30
	v_or_b32_e32 v1, v1, v29
	v_and_b32_e32 v1, 0xffff, v1
	v_lshl_add_u32 v1, v1, 3, 0
	s_waitcnt vmcnt(7)
	ds_write_b64 v1, v[14:15]
	;; [unrolled: 6-line block ×4, first 2 shown]
	v_lshlrev_b16_e32 v1, 3, v36
	v_add_u16_e32 v1, v1, v35
	v_lshl_add_u32 v1, v1, 3, 0
	s_waitcnt vmcnt(4)
	ds_write_b64 v1, v[20:21]
	v_lshlrev_b16_e32 v1, 3, v38
	v_or_b32_e32 v1, v1, v37
	v_and_b32_e32 v1, 0xffff, v1
	v_lshl_add_u32 v1, v1, 3, 0
	s_waitcnt vmcnt(3)
	ds_write_b64 v1, v[22:23]
	v_lshlrev_b16_e32 v1, 3, v40
	v_add_u16_e32 v1, v1, v39
	v_lshl_add_u32 v1, v1, 3, 0
	s_waitcnt vmcnt(2)
	ds_write_b64 v1, v[24:25]
	v_lshlrev_b16_e32 v1, 3, v42
	v_add_u16_e32 v1, v1, v41
	;; [unrolled: 5-line block ×3, first 2 shown]
	v_lshl_add_u32 v1, v1, 3, 0
	s_waitcnt vmcnt(0)
	ds_write_b64 v1, v[2:3]
.LBB0_15:
	v_and_b32_e32 v4, 7, v0
	v_lshrrev_b32_e32 v7, 3, v0
	v_lshlrev_b32_e32 v1, 6, v7
	v_lshlrev_b32_e32 v13, 3, v4
	v_add3_u32 v6, 0, v1, v13
	v_add_u32_e32 v1, 0xd00, v6
	s_waitcnt lgkmcnt(0)
	s_barrier
	ds_read2_b64 v[14:17], v1 offset0:16 offset1:232
	v_add_u32_e32 v1, 0x2800, v6
	ds_read2_b64 v[8:11], v6 offset1:216
	ds_read2_b64 v[18:21], v1 offset0:16 offset1:232
	v_add_u32_e32 v1, 0x1a00, v6
	s_mov_b32 s6, 0x3f5db3d7
	v_lshl_add_u32 v12, v7, 7, v6
	s_waitcnt lgkmcnt(1)
	v_pk_add_f32 v[2:3], v[8:9], v[16:17]
	s_waitcnt lgkmcnt(0)
	v_pk_add_f32 v[22:23], v[16:17], v[18:19]
	v_pk_add_f32 v[2:3], v[2:3], v[18:19]
	v_pk_fma_f32 v[8:9], v[22:23], 0.5, v[8:9] op_sel_hi:[1,0,1] neg_lo:[1,0,0] neg_hi:[1,0,0]
	v_pk_add_f32 v[22:23], v[16:17], v[18:19] neg_lo:[0,1] neg_hi:[0,1]
	ds_read2_b64 v[16:19], v1 offset0:32 offset1:248
	v_pk_mul_f32 v[22:23], v[22:23], s[6:7] op_sel_hi:[1,0]
	v_add_u32_e32 v5, 27, v7
	v_pk_add_f32 v[24:25], v[8:9], v[22:23] op_sel:[0,1] op_sel_hi:[1,0] neg_lo:[0,1] neg_hi:[0,1]
	v_pk_add_f32 v[8:9], v[8:9], v[22:23] op_sel:[0,1] op_sel_hi:[1,0]
	s_waitcnt lgkmcnt(0)
	v_pk_add_f32 v[22:23], v[10:11], v[16:17]
	v_pk_add_f32 v[26:27], v[16:17], v[20:21]
	;; [unrolled: 1-line block ×3, first 2 shown]
	v_pk_add_f32 v[16:17], v[16:17], v[20:21] neg_lo:[0,1] neg_hi:[0,1]
	ds_read_b64 v[20:21], v6 offset:13824
	v_pk_fma_f32 v[10:11], v[26:27], 0.5, v[10:11] op_sel_hi:[1,0,1] neg_lo:[1,0,0] neg_hi:[1,0,0]
	v_pk_mul_f32 v[16:17], v[16:17], s[6:7] op_sel_hi:[1,0]
	v_mov_b32_e32 v28, v24
	v_pk_add_f32 v[26:27], v[10:11], v[16:17] op_sel:[0,1] op_sel_hi:[1,0] neg_lo:[0,1] neg_hi:[0,1]
	v_pk_add_f32 v[10:11], v[10:11], v[16:17] op_sel:[0,1] op_sel_hi:[1,0]
	v_mov_b32_e32 v29, v9
	v_mov_b32_e32 v9, v25
	s_waitcnt lgkmcnt(0)
	s_barrier
	ds_write2_b64 v12, v[2:3], v[28:29] offset1:8
	ds_write_b64 v12, v[8:9] offset:128
	v_mov_b32_e32 v2, v26
	v_mov_b32_e32 v3, v11
	v_add_u32_e32 v8, 0x1000, v12
	ds_write2_b64 v8, v[22:23], v[2:3] offset0:136 offset1:144
	v_pk_add_f32 v[2:3], v[18:19], v[20:21]
	v_pk_add_f32 v[8:9], v[18:19], v[20:21] neg_lo:[0,1] neg_hi:[0,1]
	v_mov_b32_e32 v11, v27
	v_pk_fma_f32 v[2:3], v[2:3], 0.5, v[14:15] op_sel_hi:[1,0,1] neg_lo:[1,0,0] neg_hi:[1,0,0]
	v_pk_mul_f32 v[8:9], v[8:9], s[6:7] op_sel_hi:[1,0]
	v_pk_add_f32 v[16:17], v[14:15], v[18:19]
	ds_write_b64 v12, v[10:11] offset:5312
	v_pk_add_f32 v[10:11], v[2:3], v[8:9] op_sel:[0,1] op_sel_hi:[1,0] neg_lo:[0,1] neg_hi:[0,1]
	v_pk_add_f32 v[2:3], v[2:3], v[8:9] op_sel:[0,1] op_sel_hi:[1,0]
	v_pk_add_f32 v[16:17], v[16:17], v[20:21]
	v_mov_b32_e32 v8, v10
	v_mov_b32_e32 v9, v3
	v_add_u32_e32 v3, 0x2800, v12
	s_mov_b32 s7, 0x55555556
	ds_write2_b64 v3, v[16:17], v[8:9] offset0:16 offset1:24
	v_mov_b32_e32 v3, v11
	v_mul_hi_u32 v38, v5, s7
	ds_write_b64 v12, v[2:3] offset:10496
	v_mul_u32_u24_e32 v2, 3, v38
	v_add_u32_e32 v1, 54, v7
	v_sub_u32_e32 v39, v5, v2
	v_lshlrev_b32_e32 v2, 1, v39
	v_mov_b32_e32 v3, 0
	v_mul_hi_u32 v40, v1, s7
	v_lshl_add_u64 v[8:9], v[2:3], 3, s[4:5]
	v_mul_u32_u24_e32 v2, 3, v40
	v_sub_u32_e32 v41, v1, v2
	v_lshlrev_b32_e32 v2, 1, v41
	v_lshl_add_u64 v[10:11], v[2:3], 3, s[4:5]
	s_waitcnt lgkmcnt(0)
	s_barrier
	global_load_dwordx4 v[14:17], v[10:11], off
	global_load_dwordx4 v[18:21], v[8:9], off
	v_mul_hi_u32 v2, v7, s7
	v_lshl_add_u32 v2, v2, 1, v2
	v_sub_u32_e32 v2, v7, v2
	v_lshlrev_b32_e32 v8, 4, v2
	global_load_dwordx4 v[22:25], v8, s[4:5]
	v_add_u32_e32 v8, 0x1440, v12
	v_lshlrev_b32_e32 v9, 7, v5
	v_add_u32_e32 v42, 0x2880, v12
	v_sub_u32_e32 v9, v8, v9
	v_lshlrev_b32_e32 v8, 7, v1
	s_mov_b32 s7, 0xaaaaaaab
	v_sub_u32_e32 v8, v42, v8
	v_mul_hi_u32 v42, v0, s7
	v_add_u32_e32 v11, 0x2100, v6
	v_lshrrev_b32_e32 v42, 4, v42
	ds_read2_b64 v[30:33], v11 offset0:24 offset1:240
	v_mul_u32_u24_e32 v42, 9, v42
	v_add_u32_e32 v12, 0x2f00, v6
	v_add_lshl_u32 v2, v42, v2, 6
	v_add_u32_e32 v10, 0x1400, v6
	ds_read2_b64 v[34:37], v12 offset0:8 offset1:224
	v_add3_u32 v44, 0, v2, v13
	v_mul_u32_u24_e32 v2, 9, v38
	ds_read2_b64 v[26:29], v10 offset0:8 offset1:224
	v_add_lshl_u32 v2, v2, v39, 6
	v_add3_u32 v45, 0, v2, v13
	v_mul_u32_u24_e32 v2, 9, v40
	v_add_lshl_u32 v2, v2, v41, 6
	v_add3_u32 v46, 0, v2, v13
	s_mov_b32 s8, 0x1c71c71d
	s_waitcnt vmcnt(2) lgkmcnt(2)
	v_pk_mul_f32 v[38:39], v[14:15], v[30:31] op_sel:[0,1]
	s_nop 0
	v_pk_fma_f32 v[40:41], v[14:15], v[30:31], v[38:39] op_sel:[0,0,1] op_sel_hi:[1,1,0]
	v_pk_fma_f32 v[14:15], v[14:15], v[30:31], v[38:39] op_sel:[0,0,1] op_sel_hi:[1,0,0] neg_lo:[1,0,0] neg_hi:[1,0,0]
	v_mov_b32_e32 v2, v17
	v_mov_b32_e32 v41, v15
	s_waitcnt lgkmcnt(1)
	v_pk_mul_f32 v[14:15], v[36:37], v[2:3] op_sel_hi:[1,0]
	ds_read_b64 v[30:31], v8
	v_pk_fma_f32 v[38:39], v[36:37], v[16:17], v[14:15] op_sel:[0,0,1] op_sel_hi:[1,1,0]
	v_pk_fma_f32 v[14:15], v[36:37], v[16:17], v[14:15] op_sel:[0,0,1] op_sel_hi:[1,0,0] neg_lo:[0,0,1] neg_hi:[0,0,1]
	s_waitcnt vmcnt(1) lgkmcnt(1)
	v_pk_mul_f32 v[36:37], v[18:19], v[28:29] op_sel:[0,1]
	v_mov_b32_e32 v39, v15
	ds_read_b64 v[14:15], v9
	v_pk_fma_f32 v[42:43], v[18:19], v[28:29], v[36:37] op_sel:[0,0,1] op_sel_hi:[1,1,0]
	v_pk_fma_f32 v[18:19], v[18:19], v[28:29], v[36:37] op_sel:[0,0,1] op_sel_hi:[1,0,0] neg_lo:[1,0,0] neg_hi:[1,0,0]
	s_nop 0
	v_mov_b32_e32 v43, v19
	v_pk_mul_f32 v[18:19], v[20:21], v[34:35] op_sel:[0,1]
	s_nop 0
	v_pk_fma_f32 v[28:29], v[20:21], v[34:35], v[18:19] op_sel:[0,0,1] op_sel_hi:[1,1,0]
	v_pk_fma_f32 v[18:19], v[20:21], v[34:35], v[18:19] op_sel:[0,0,1] op_sel_hi:[1,0,0] neg_lo:[1,0,0] neg_hi:[1,0,0]
	s_waitcnt vmcnt(0)
	v_pk_mul_f32 v[34:35], v[22:23], v[26:27] op_sel:[0,1]
	v_mov_b32_e32 v29, v19
	ds_read_b64 v[18:19], v6
	v_pk_fma_f32 v[36:37], v[22:23], v[26:27], v[34:35] op_sel:[0,0,1] op_sel_hi:[1,1,0]
	v_pk_fma_f32 v[22:23], v[22:23], v[26:27], v[34:35] op_sel:[0,0,1] op_sel_hi:[1,0,0] neg_lo:[1,0,0] neg_hi:[1,0,0]
	s_waitcnt lgkmcnt(0)
	v_mov_b32_e32 v37, v23
	v_pk_mul_f32 v[22:23], v[24:25], v[32:33] op_sel:[0,1]
	s_barrier
	v_pk_fma_f32 v[26:27], v[24:25], v[32:33], v[22:23] op_sel:[0,0,1] op_sel_hi:[1,1,0]
	v_pk_fma_f32 v[22:23], v[24:25], v[32:33], v[22:23] op_sel:[0,0,1] op_sel_hi:[1,0,0] neg_lo:[1,0,0] neg_hi:[1,0,0]
	s_nop 0
	v_mov_b32_e32 v27, v23
	v_pk_add_f32 v[24:25], v[36:37], v[26:27]
	v_pk_add_f32 v[22:23], v[18:19], v[36:37]
	v_pk_fma_f32 v[18:19], v[24:25], 0.5, v[18:19] op_sel_hi:[1,0,1] neg_lo:[1,0,0] neg_hi:[1,0,0]
	v_pk_add_f32 v[24:25], v[36:37], v[26:27] neg_lo:[0,1] neg_hi:[0,1]
	v_pk_add_f32 v[22:23], v[22:23], v[26:27]
	v_pk_mul_f32 v[24:25], v[24:25], s[6:7] op_sel_hi:[1,0]
	v_pk_add_f32 v[20:21], v[14:15], v[42:43]
	v_pk_add_f32 v[26:27], v[18:19], v[24:25] op_sel:[0,1] op_sel_hi:[1,0] neg_lo:[0,1] neg_hi:[0,1]
	v_pk_add_f32 v[18:19], v[18:19], v[24:25] op_sel:[0,1] op_sel_hi:[1,0]
	v_mov_b32_e32 v24, v26
	v_mov_b32_e32 v25, v19
	;; [unrolled: 1-line block ×3, first 2 shown]
	ds_write_b64 v44, v[18:19] offset:384
	v_pk_add_f32 v[18:19], v[42:43], v[28:29]
	ds_write2_b64 v44, v[22:23], v[24:25] offset1:24
	v_pk_fma_f32 v[14:15], v[18:19], 0.5, v[14:15] op_sel_hi:[1,0,1] neg_lo:[1,0,0] neg_hi:[1,0,0]
	v_pk_add_f32 v[18:19], v[42:43], v[28:29] neg_lo:[0,1] neg_hi:[0,1]
	v_pk_add_f32 v[20:21], v[20:21], v[28:29]
	v_pk_mul_f32 v[18:19], v[18:19], s[6:7] op_sel_hi:[1,0]
	v_pk_add_f32 v[16:17], v[30:31], v[40:41]
	v_pk_add_f32 v[22:23], v[14:15], v[18:19] op_sel:[0,1] op_sel_hi:[1,0] neg_lo:[0,1] neg_hi:[0,1]
	v_pk_add_f32 v[14:15], v[14:15], v[18:19] op_sel:[0,1] op_sel_hi:[1,0]
	v_mov_b32_e32 v18, v22
	v_mov_b32_e32 v19, v15
	ds_write2_b64 v45, v[20:21], v[18:19] offset1:24
	v_pk_add_f32 v[18:19], v[40:41], v[38:39] neg_lo:[0,1] neg_hi:[0,1]
	v_mov_b32_e32 v15, v23
	v_pk_mul_f32 v[18:19], v[18:19], s[6:7] op_sel_hi:[1,0]
	s_mov_b32 s7, 0x38e38e39
	v_mul_hi_u32 v2, v5, s7
	v_pk_add_f32 v[16:17], v[16:17], v[38:39]
	ds_write_b64 v45, v[14:15] offset:384
	v_pk_add_f32 v[14:15], v[40:41], v[38:39]
	v_lshrrev_b32_e32 v38, 1, v2
	v_mul_u32_u24_e32 v2, 9, v38
	v_sub_u32_e32 v39, v5, v2
	v_lshlrev_b32_e32 v2, 1, v39
	v_lshl_add_u64 v[22:23], v[2:3], 3, s[4:5]
	v_mul_hi_u32 v2, v1, s7
	v_lshrrev_b32_e32 v40, 1, v2
	v_mul_u32_u24_e32 v2, 9, v40
	v_pk_fma_f32 v[14:15], v[14:15], 0.5, v[30:31] op_sel_hi:[1,0,1] neg_lo:[1,0,0] neg_hi:[1,0,0]
	v_sub_u32_e32 v41, v1, v2
	v_pk_add_f32 v[20:21], v[14:15], v[18:19] op_sel:[0,1] op_sel_hi:[1,0] neg_lo:[0,1] neg_hi:[0,1]
	v_pk_add_f32 v[14:15], v[14:15], v[18:19] op_sel:[0,1] op_sel_hi:[1,0]
	v_lshlrev_b32_e32 v2, 1, v41
	v_mov_b32_e32 v18, v20
	v_mov_b32_e32 v19, v15
	;; [unrolled: 1-line block ×3, first 2 shown]
	v_lshl_add_u64 v[24:25], v[2:3], 3, s[4:5]
	ds_write2_b64 v46, v[16:17], v[18:19] offset1:24
	ds_write_b64 v46, v[14:15] offset:384
	s_waitcnt lgkmcnt(0)
	s_barrier
	global_load_dwordx4 v[14:17], v[24:25], off offset:48
	global_load_dwordx4 v[18:21], v[22:23], off offset:48
	v_mul_hi_u32 v2, v7, s8
	v_lshl_add_u32 v2, v2, 3, v2
	v_sub_u32_e32 v2, v7, v2
	v_lshlrev_b32_e32 v22, 4, v2
	global_load_dwordx4 v[22:25], v22, s[4:5] offset:48
	v_mul_hi_u32 v0, v0, s7
	v_lshrrev_b32_e32 v0, 4, v0
	v_mul_u32_u24_e32 v0, 27, v0
	ds_read2_b64 v[26:29], v10 offset0:8 offset1:224
	ds_read2_b64 v[30:33], v11 offset0:24 offset1:240
	;; [unrolled: 1-line block ×3, first 2 shown]
	v_add_lshl_u32 v0, v0, v2, 6
	v_add3_u32 v2, 0, v0, v13
	v_mul_u32_u24_e32 v0, 27, v38
	v_add_lshl_u32 v0, v0, v39, 6
	v_add3_u32 v44, 0, v0, v13
	v_mul_u32_u24_e32 v0, 27, v40
	v_add_lshl_u32 v0, v0, v41, 6
	v_add3_u32 v45, 0, v0, v13
	s_waitcnt vmcnt(2) lgkmcnt(1)
	v_pk_mul_f32 v[38:39], v[14:15], v[30:31] op_sel:[0,1]
	s_nop 0
	v_pk_fma_f32 v[40:41], v[14:15], v[30:31], v[38:39] op_sel:[0,0,1] op_sel_hi:[1,1,0]
	v_pk_fma_f32 v[14:15], v[14:15], v[30:31], v[38:39] op_sel:[0,0,1] op_sel_hi:[1,0,0] neg_lo:[1,0,0] neg_hi:[1,0,0]
	v_mov_b32_e32 v0, v17
	v_mov_b32_e32 v41, v15
	s_waitcnt lgkmcnt(0)
	v_pk_mul_f32 v[14:15], v[36:37], v[0:1] op_sel_hi:[1,0]
	ds_read_b64 v[30:31], v8
	v_pk_fma_f32 v[38:39], v[36:37], v[16:17], v[14:15] op_sel:[0,0,1] op_sel_hi:[1,1,0]
	v_pk_fma_f32 v[14:15], v[36:37], v[16:17], v[14:15] op_sel:[0,0,1] op_sel_hi:[1,0,0] neg_lo:[0,0,1] neg_hi:[0,0,1]
	s_waitcnt vmcnt(1)
	v_pk_mul_f32 v[36:37], v[18:19], v[28:29] op_sel:[0,1]
	v_mov_b32_e32 v39, v15
	ds_read_b64 v[14:15], v9
	v_pk_fma_f32 v[42:43], v[18:19], v[28:29], v[36:37] op_sel:[0,0,1] op_sel_hi:[1,1,0]
	v_pk_fma_f32 v[18:19], v[18:19], v[28:29], v[36:37] op_sel:[0,0,1] op_sel_hi:[1,0,0] neg_lo:[1,0,0] neg_hi:[1,0,0]
	s_nop 0
	v_mov_b32_e32 v43, v19
	v_pk_mul_f32 v[18:19], v[20:21], v[34:35] op_sel:[0,1]
	s_nop 0
	v_pk_fma_f32 v[28:29], v[20:21], v[34:35], v[18:19] op_sel:[0,0,1] op_sel_hi:[1,1,0]
	v_pk_fma_f32 v[18:19], v[20:21], v[34:35], v[18:19] op_sel:[0,0,1] op_sel_hi:[1,0,0] neg_lo:[1,0,0] neg_hi:[1,0,0]
	s_waitcnt vmcnt(0)
	v_pk_mul_f32 v[34:35], v[22:23], v[26:27] op_sel:[0,1]
	v_mov_b32_e32 v29, v19
	ds_read_b64 v[18:19], v6
	v_pk_fma_f32 v[36:37], v[22:23], v[26:27], v[34:35] op_sel:[0,0,1] op_sel_hi:[1,1,0]
	v_pk_fma_f32 v[22:23], v[22:23], v[26:27], v[34:35] op_sel:[0,0,1] op_sel_hi:[1,0,0] neg_lo:[1,0,0] neg_hi:[1,0,0]
	s_waitcnt lgkmcnt(0)
	v_mov_b32_e32 v37, v23
	v_pk_mul_f32 v[22:23], v[24:25], v[32:33] op_sel:[0,1]
	s_barrier
	v_pk_fma_f32 v[26:27], v[24:25], v[32:33], v[22:23] op_sel:[0,0,1] op_sel_hi:[1,1,0]
	v_pk_fma_f32 v[22:23], v[24:25], v[32:33], v[22:23] op_sel:[0,0,1] op_sel_hi:[1,0,0] neg_lo:[1,0,0] neg_hi:[1,0,0]
	s_nop 0
	v_mov_b32_e32 v27, v23
	v_pk_add_f32 v[24:25], v[36:37], v[26:27]
	v_pk_add_f32 v[22:23], v[18:19], v[36:37]
	v_pk_fma_f32 v[18:19], v[24:25], 0.5, v[18:19] op_sel_hi:[1,0,1] neg_lo:[1,0,0] neg_hi:[1,0,0]
	v_pk_add_f32 v[24:25], v[36:37], v[26:27] neg_lo:[0,1] neg_hi:[0,1]
	v_pk_add_f32 v[22:23], v[22:23], v[26:27]
	v_pk_mul_f32 v[24:25], v[24:25], s[6:7] op_sel_hi:[1,0]
	v_pk_add_f32 v[20:21], v[14:15], v[42:43]
	v_pk_add_f32 v[26:27], v[18:19], v[24:25] op_sel:[0,1] op_sel_hi:[1,0] neg_lo:[0,1] neg_hi:[0,1]
	v_pk_add_f32 v[18:19], v[18:19], v[24:25] op_sel:[0,1] op_sel_hi:[1,0]
	v_mov_b32_e32 v24, v26
	v_mov_b32_e32 v25, v19
	v_mov_b32_e32 v19, v27
	ds_write_b64 v2, v[18:19] offset:1152
	v_pk_add_f32 v[18:19], v[42:43], v[28:29]
	ds_write2_b64 v2, v[22:23], v[24:25] offset1:72
	v_pk_fma_f32 v[14:15], v[18:19], 0.5, v[14:15] op_sel_hi:[1,0,1] neg_lo:[1,0,0] neg_hi:[1,0,0]
	v_pk_add_f32 v[18:19], v[42:43], v[28:29] neg_lo:[0,1] neg_hi:[0,1]
	v_pk_add_f32 v[20:21], v[20:21], v[28:29]
	v_pk_mul_f32 v[18:19], v[18:19], s[6:7] op_sel_hi:[1,0]
	v_pk_add_f32 v[16:17], v[30:31], v[40:41]
	v_pk_add_f32 v[22:23], v[14:15], v[18:19] op_sel:[0,1] op_sel_hi:[1,0] neg_lo:[0,1] neg_hi:[0,1]
	v_pk_add_f32 v[14:15], v[14:15], v[18:19] op_sel:[0,1] op_sel_hi:[1,0]
	v_mov_b32_e32 v18, v22
	v_mov_b32_e32 v19, v15
	ds_write2_b64 v44, v[20:21], v[18:19] offset1:72
	v_pk_add_f32 v[18:19], v[40:41], v[38:39] neg_lo:[0,1] neg_hi:[0,1]
	v_mov_b32_e32 v15, v23
	v_pk_mul_f32 v[18:19], v[18:19], s[6:7] op_sel_hi:[1,0]
	s_mov_b32 s7, 0x4bda12f7
	v_mul_hi_u32 v0, v5, s7
	v_lshrrev_b32_e32 v0, 3, v0
	v_mul_u32_u24_e32 v2, 27, v0
	v_pk_add_f32 v[16:17], v[16:17], v[38:39]
	ds_write_b64 v44, v[14:15] offset:1152
	v_pk_add_f32 v[14:15], v[40:41], v[38:39]
	v_sub_u32_e32 v38, v5, v2
	v_lshlrev_b32_e32 v2, 1, v38
	v_lshl_add_u64 v[22:23], v[2:3], 3, s[4:5]
	v_mul_hi_u32 v2, v1, s7
	v_lshrrev_b32_e32 v39, 3, v2
	v_mul_u32_u24_e32 v2, 27, v39
	v_pk_fma_f32 v[14:15], v[14:15], 0.5, v[30:31] op_sel_hi:[1,0,1] neg_lo:[1,0,0] neg_hi:[1,0,0]
	v_sub_u32_e32 v40, v1, v2
	v_pk_add_f32 v[20:21], v[14:15], v[18:19] op_sel:[0,1] op_sel_hi:[1,0] neg_lo:[0,1] neg_hi:[0,1]
	v_pk_add_f32 v[14:15], v[14:15], v[18:19] op_sel:[0,1] op_sel_hi:[1,0]
	v_lshlrev_b32_e32 v2, 1, v40
	v_mov_b32_e32 v18, v20
	v_mov_b32_e32 v19, v15
	;; [unrolled: 1-line block ×3, first 2 shown]
	v_lshl_add_u64 v[24:25], v[2:3], 3, s[4:5]
	ds_write2_b64 v45, v[16:17], v[18:19] offset1:72
	ds_write_b64 v45, v[14:15] offset:1152
	s_waitcnt lgkmcnt(0)
	s_barrier
	global_load_dwordx4 v[14:17], v[24:25], off offset:192
	global_load_dwordx4 v[18:21], v[22:23], off offset:192
	s_mov_b32 s7, 0x97b425f
	v_mul_hi_u32 v2, v7, s7
	v_mul_lo_u32 v22, v2, 27
	v_sub_u32_e32 v41, v7, v22
	v_lshlrev_b32_e32 v22, 4, v41
	global_load_dwordx4 v[22:25], v22, s[4:5] offset:192
	ds_read2_b64 v[26:29], v10 offset0:8 offset1:224
	ds_read2_b64 v[30:33], v11 offset0:24 offset1:240
	;; [unrolled: 1-line block ×3, first 2 shown]
	v_mul_u32_u24_e32 v0, 0x51, v0
	v_add_lshl_u32 v0, v0, v38, 6
	v_mul_u32_u24_e32 v2, 0x51, v2
	v_add3_u32 v44, 0, v0, v13
	v_mul_u32_u24_e32 v0, 0x51, v39
	v_add_lshl_u32 v2, v2, v41, 6
	v_add_lshl_u32 v0, v0, v40, 6
	v_add3_u32 v2, 0, v2, v13
	v_add3_u32 v13, 0, v0, v13
	s_waitcnt vmcnt(2) lgkmcnt(1)
	v_pk_mul_f32 v[38:39], v[14:15], v[30:31] op_sel:[0,1]
	s_nop 0
	v_pk_fma_f32 v[40:41], v[14:15], v[30:31], v[38:39] op_sel:[0,0,1] op_sel_hi:[1,1,0]
	v_pk_fma_f32 v[14:15], v[14:15], v[30:31], v[38:39] op_sel:[0,0,1] op_sel_hi:[1,0,0] neg_lo:[1,0,0] neg_hi:[1,0,0]
	v_mov_b32_e32 v0, v17
	v_mov_b32_e32 v41, v15
	s_waitcnt lgkmcnt(0)
	v_pk_mul_f32 v[14:15], v[36:37], v[0:1] op_sel_hi:[1,0]
	ds_read_b64 v[30:31], v8
	v_pk_fma_f32 v[38:39], v[36:37], v[16:17], v[14:15] op_sel:[0,0,1] op_sel_hi:[1,1,0]
	v_pk_fma_f32 v[14:15], v[36:37], v[16:17], v[14:15] op_sel:[0,0,1] op_sel_hi:[1,0,0] neg_lo:[0,0,1] neg_hi:[0,0,1]
	s_waitcnt vmcnt(1)
	v_pk_mul_f32 v[36:37], v[18:19], v[28:29] op_sel:[0,1]
	v_mov_b32_e32 v39, v15
	ds_read_b64 v[14:15], v9
	v_pk_fma_f32 v[42:43], v[18:19], v[28:29], v[36:37] op_sel:[0,0,1] op_sel_hi:[1,1,0]
	v_pk_fma_f32 v[18:19], v[18:19], v[28:29], v[36:37] op_sel:[0,0,1] op_sel_hi:[1,0,0] neg_lo:[1,0,0] neg_hi:[1,0,0]
	v_or_b32_e32 v0, s23, v4
	v_mov_b32_e32 v43, v19
	v_pk_mul_f32 v[18:19], v[20:21], v[34:35] op_sel:[0,1]
	v_cmp_gt_u32_e32 vcc, s33, v0
	v_pk_fma_f32 v[28:29], v[20:21], v[34:35], v[18:19] op_sel:[0,0,1] op_sel_hi:[1,1,0]
	v_pk_fma_f32 v[18:19], v[20:21], v[34:35], v[18:19] op_sel:[0,0,1] op_sel_hi:[1,0,0] neg_lo:[1,0,0] neg_hi:[1,0,0]
	s_waitcnt vmcnt(0)
	v_pk_mul_f32 v[34:35], v[22:23], v[26:27] op_sel:[0,1]
	v_mov_b32_e32 v29, v19
	ds_read_b64 v[18:19], v6
	v_pk_fma_f32 v[36:37], v[22:23], v[26:27], v[34:35] op_sel:[0,0,1] op_sel_hi:[1,1,0]
	v_pk_fma_f32 v[22:23], v[22:23], v[26:27], v[34:35] op_sel:[0,0,1] op_sel_hi:[1,0,0] neg_lo:[1,0,0] neg_hi:[1,0,0]
	s_waitcnt lgkmcnt(0)
	v_mov_b32_e32 v37, v23
	v_pk_mul_f32 v[22:23], v[24:25], v[32:33] op_sel:[0,1]
	s_barrier
	v_pk_fma_f32 v[26:27], v[24:25], v[32:33], v[22:23] op_sel:[0,0,1] op_sel_hi:[1,1,0]
	v_pk_fma_f32 v[22:23], v[24:25], v[32:33], v[22:23] op_sel:[0,0,1] op_sel_hi:[1,0,0] neg_lo:[1,0,0] neg_hi:[1,0,0]
	s_nop 0
	v_mov_b32_e32 v27, v23
	v_pk_add_f32 v[24:25], v[36:37], v[26:27]
	v_pk_add_f32 v[22:23], v[18:19], v[36:37]
	v_pk_fma_f32 v[18:19], v[24:25], 0.5, v[18:19] op_sel_hi:[1,0,1] neg_lo:[1,0,0] neg_hi:[1,0,0]
	v_pk_add_f32 v[24:25], v[36:37], v[26:27] neg_lo:[0,1] neg_hi:[0,1]
	v_pk_add_f32 v[22:23], v[22:23], v[26:27]
	v_pk_mul_f32 v[24:25], v[24:25], s[6:7] op_sel_hi:[1,0]
	v_pk_add_f32 v[20:21], v[14:15], v[42:43]
	v_pk_add_f32 v[26:27], v[18:19], v[24:25] op_sel:[0,1] op_sel_hi:[1,0] neg_lo:[0,1] neg_hi:[0,1]
	v_pk_add_f32 v[18:19], v[18:19], v[24:25] op_sel:[0,1] op_sel_hi:[1,0]
	v_mov_b32_e32 v24, v26
	v_mov_b32_e32 v25, v19
	;; [unrolled: 1-line block ×3, first 2 shown]
	ds_write_b64 v2, v[18:19] offset:3456
	v_pk_add_f32 v[18:19], v[42:43], v[28:29]
	ds_write2_b64 v2, v[22:23], v[24:25] offset1:216
	v_pk_fma_f32 v[14:15], v[18:19], 0.5, v[14:15] op_sel_hi:[1,0,1] neg_lo:[1,0,0] neg_hi:[1,0,0]
	v_pk_add_f32 v[18:19], v[42:43], v[28:29] neg_lo:[0,1] neg_hi:[0,1]
	v_pk_add_f32 v[20:21], v[20:21], v[28:29]
	v_pk_mul_f32 v[18:19], v[18:19], s[6:7] op_sel_hi:[1,0]
	v_pk_add_f32 v[16:17], v[30:31], v[40:41]
	v_pk_add_f32 v[22:23], v[14:15], v[18:19] op_sel:[0,1] op_sel_hi:[1,0] neg_lo:[0,1] neg_hi:[0,1]
	v_pk_add_f32 v[14:15], v[14:15], v[18:19] op_sel:[0,1] op_sel_hi:[1,0]
	v_mov_b32_e32 v18, v22
	v_mov_b32_e32 v19, v15
	;; [unrolled: 1-line block ×3, first 2 shown]
	ds_write2_b64 v44, v[20:21], v[18:19] offset1:216
	ds_write_b64 v44, v[14:15] offset:3456
	v_pk_add_f32 v[14:15], v[40:41], v[38:39]
	v_pk_add_f32 v[18:19], v[40:41], v[38:39] neg_lo:[0,1] neg_hi:[0,1]
	v_pk_fma_f32 v[14:15], v[14:15], 0.5, v[30:31] op_sel_hi:[1,0,1] neg_lo:[1,0,0] neg_hi:[1,0,0]
	v_pk_mul_f32 v[18:19], v[18:19], s[6:7] op_sel_hi:[1,0]
	v_pk_add_f32 v[16:17], v[16:17], v[38:39]
	v_pk_add_f32 v[20:21], v[14:15], v[18:19] op_sel:[0,1] op_sel_hi:[1,0] neg_lo:[0,1] neg_hi:[0,1]
	v_pk_add_f32 v[14:15], v[14:15], v[18:19] op_sel:[0,1] op_sel_hi:[1,0]
	v_mov_b32_e32 v18, v20
	v_mov_b32_e32 v19, v15
	v_mov_b32_e32 v15, v21
	s_or_b64 s[2:3], s[2:3], vcc
	ds_write2_b64 v13, v[16:17], v[18:19] offset1:216
	ds_write_b64 v13, v[14:15] offset:3456
	s_waitcnt lgkmcnt(0)
	s_barrier
	s_and_saveexec_b64 s[8:9], s[2:3]
	s_cbranch_execz .LBB0_17
; %bb.16:
	s_mov_b32 s2, 0x1948b0fd
	v_mul_hi_u32 v0, v1, s2
	v_lshrrev_b32_e32 v54, 3, v0
	v_mul_u32_u24_e32 v0, 0x51, v54
	v_sub_u32_e32 v0, v1, v0
	v_lshlrev_b32_e32 v2, 1, v0
	v_mul_hi_u32 v0, v7, s2
	v_lshrrev_b32_e32 v0, 3, v0
	v_mul_u32_u24_e32 v0, 0x51, v0
	v_sub_u32_e32 v40, v7, v0
	v_lshlrev_b32_e32 v0, 4, v40
	global_load_dwordx4 v[14:17], v0, s[4:5] offset:624
	v_mul_hi_u32 v0, v5, s2
	v_lshrrev_b32_e32 v41, 3, v0
	v_mul_u32_u24_e32 v0, 0x51, v41
	v_sub_u32_e32 v0, v5, v0
	v_lshl_add_u64 v[26:27], v[2:3], 3, s[4:5]
	v_lshlrev_b32_e32 v2, 1, v0
	v_lshl_add_u64 v[28:29], v[2:3], 3, s[4:5]
	global_load_dwordx4 v[18:21], v[28:29], off offset:624
	global_load_dwordx4 v[22:25], v[26:27], off offset:624
	s_mul_i32 s1, s1, s15
	s_mul_hi_u32 s4, s0, s15
	v_mad_u64_u32 v[34:35], s[2:3], s12, v4, 0
	s_mul_i32 s0, s0, s15
	s_add_i32 s1, s4, s1
	v_mov_b32_e32 v0, v35
	ds_read2_b64 v[26:29], v11 offset0:24 offset1:240
	ds_read2_b64 v[30:33], v10 offset0:8 offset1:224
	;; [unrolled: 1-line block ×3, first 2 shown]
	v_mad_u64_u32 v[38:39], s[2:3], s13, v4, v[0:1]
	s_lshl_b64 s[0:1], s[0:1], 3
	s_add_u32 s2, s18, s0
	s_addc_u32 s3, s19, s1
	s_lshl_b64 s[0:1], s[24:25], 3
	s_add_u32 s0, s2, s0
	s_movk_i32 s7, 0xa2
	ds_read_b64 v[6:7], v6
	ds_read_b64 v[36:37], v9
	;; [unrolled: 1-line block ×3, first 2 shown]
	v_mov_b32_e32 v35, v38
	s_addc_u32 s1, s3, s1
	s_mul_i32 s5, s14, 0x51
	v_mad_u32_u24 v0, v41, s7, v5
	v_mul_lo_u32 v2, v40, s14
	v_lshl_add_u64 v[4:5], v[34:35], 3, s[0:1]
	v_lshl_add_u64 v[34:35], v[2:3], 3, v[4:5]
	v_add_u32_e32 v2, s5, v2
	v_lshl_add_u64 v[38:39], v[2:3], 3, v[4:5]
	v_add_u32_e32 v2, s5, v2
	v_lshl_add_u64 v[40:41], v[2:3], 3, v[4:5]
	v_mul_lo_u32 v2, v0, s14
	v_lshl_add_u64 v[42:43], v[2:3], 3, v[4:5]
	v_add_u32_e32 v2, s5, v2
	v_lshl_add_u64 v[44:45], v[2:3], 3, v[4:5]
	v_add_u32_e32 v2, s5, v2
	v_mad_u32_u24 v0, v54, s7, v1
	v_lshl_add_u64 v[46:47], v[2:3], 3, v[4:5]
	v_mul_lo_u32 v2, v0, s14
	v_lshl_add_u64 v[0:1], v[2:3], 3, v[4:5]
	v_add_u32_e32 v2, s5, v2
	s_waitcnt vmcnt(2) lgkmcnt(4)
	v_pk_mul_f32 v[48:49], v[14:15], v[30:31] op_sel:[0,1]
	v_pk_mul_f32 v[50:51], v[16:17], v[28:29] op_sel:[0,1]
	v_pk_fma_f32 v[52:53], v[14:15], v[30:31], v[48:49] op_sel:[0,0,1] op_sel_hi:[1,1,0]
	v_pk_fma_f32 v[14:15], v[14:15], v[30:31], v[48:49] op_sel:[0,0,1] op_sel_hi:[1,0,0] neg_lo:[1,0,0] neg_hi:[1,0,0]
	v_pk_fma_f32 v[30:31], v[16:17], v[28:29], v[50:51] op_sel:[0,0,1] op_sel_hi:[1,1,0]
	v_pk_fma_f32 v[16:17], v[16:17], v[28:29], v[50:51] op_sel:[0,0,1] op_sel_hi:[1,0,0] neg_lo:[1,0,0] neg_hi:[1,0,0]
	v_mov_b32_e32 v53, v15
	v_mov_b32_e32 v31, v17
	s_waitcnt vmcnt(1)
	v_pk_mul_f32 v[14:15], v[18:19], v[32:33] op_sel:[0,1]
	s_waitcnt lgkmcnt(3)
	v_pk_mul_f32 v[16:17], v[20:21], v[10:11] op_sel:[0,1]
	v_pk_add_f32 v[28:29], v[52:53], v[30:31] neg_lo:[0,1] neg_hi:[0,1]
	v_pk_add_f32 v[48:49], v[52:53], v[30:31]
	s_waitcnt lgkmcnt(2)
	v_pk_add_f32 v[50:51], v[6:7], v[52:53]
	v_pk_fma_f32 v[52:53], v[18:19], v[32:33], v[14:15] op_sel:[0,0,1] op_sel_hi:[1,1,0]
	v_pk_fma_f32 v[14:15], v[18:19], v[32:33], v[14:15] op_sel:[0,0,1] op_sel_hi:[1,0,0] neg_lo:[1,0,0] neg_hi:[1,0,0]
	v_pk_fma_f32 v[18:19], v[20:21], v[10:11], v[16:17] op_sel:[0,0,1] op_sel_hi:[1,1,0]
	v_pk_fma_f32 v[10:11], v[20:21], v[10:11], v[16:17] op_sel:[0,0,1] op_sel_hi:[1,0,0] neg_lo:[1,0,0] neg_hi:[1,0,0]
	v_pk_mul_f32 v[16:17], v[28:29], s[6:7] op_sel_hi:[1,0]
	v_pk_fma_f32 v[6:7], v[48:49], 0.5, v[6:7] op_sel_hi:[1,0,1] neg_lo:[1,0,0] neg_hi:[1,0,0]
	v_mov_b32_e32 v53, v15
	v_mov_b32_e32 v19, v11
	v_pk_add_f32 v[20:21], v[50:51], v[30:31]
	v_pk_add_f32 v[10:11], v[6:7], v[16:17] op_sel:[0,1] op_sel_hi:[1,0]
	v_pk_add_f32 v[6:7], v[6:7], v[16:17] op_sel:[0,1] op_sel_hi:[1,0] neg_lo:[0,1] neg_hi:[0,1]
	v_pk_add_f32 v[14:15], v[52:53], v[18:19] neg_lo:[0,1] neg_hi:[0,1]
	v_pk_add_f32 v[16:17], v[52:53], v[18:19]
	global_store_dwordx2 v[34:35], v[20:21], off
	v_mov_b32_e32 v20, v6
	v_mov_b32_e32 v21, v11
	;; [unrolled: 1-line block ×3, first 2 shown]
	v_pk_mul_f32 v[6:7], v[14:15], s[6:7] op_sel_hi:[1,0]
	s_waitcnt lgkmcnt(1)
	v_pk_fma_f32 v[14:15], v[16:17], 0.5, v[36:37] op_sel_hi:[1,0,1] neg_lo:[1,0,0] neg_hi:[1,0,0]
	global_store_dwordx2 v[38:39], v[20:21], off
	global_store_dwordx2 v[40:41], v[10:11], off
	v_pk_add_f32 v[10:11], v[14:15], v[6:7] op_sel:[0,1] op_sel_hi:[1,0]
	v_pk_add_f32 v[6:7], v[14:15], v[6:7] op_sel:[0,1] op_sel_hi:[1,0] neg_lo:[0,1] neg_hi:[0,1]
	v_pk_add_f32 v[14:15], v[36:37], v[52:53]
	s_nop 0
	v_pk_add_f32 v[14:15], v[14:15], v[18:19]
	global_store_dwordx2 v[42:43], v[14:15], off
	v_mov_b32_e32 v14, v6
	v_mov_b32_e32 v15, v11
	;; [unrolled: 1-line block ×3, first 2 shown]
	v_lshl_add_u64 v[6:7], v[2:3], 3, v[4:5]
	v_add_u32_e32 v2, s5, v2
	v_lshl_add_u64 v[2:3], v[2:3], 3, v[4:5]
	s_waitcnt vmcnt(4)
	v_pk_mul_f32 v[4:5], v[22:23], v[26:27] op_sel:[0,1]
	global_store_dwordx2 v[44:45], v[14:15], off
	global_store_dwordx2 v[46:47], v[10:11], off
	v_pk_fma_f32 v[10:11], v[22:23], v[26:27], v[4:5] op_sel:[0,0,1] op_sel_hi:[1,1,0]
	v_pk_fma_f32 v[4:5], v[22:23], v[26:27], v[4:5] op_sel:[0,0,1] op_sel_hi:[1,0,0] neg_lo:[1,0,0] neg_hi:[1,0,0]
	s_nop 0
	v_mov_b32_e32 v4, v25
	v_mov_b32_e32 v11, v5
	v_pk_mul_f32 v[4:5], v[12:13], v[4:5] op_sel_hi:[1,0]
	s_nop 0
	v_pk_fma_f32 v[14:15], v[12:13], v[24:25], v[4:5] op_sel:[0,0,1] op_sel_hi:[1,1,0]
	v_pk_fma_f32 v[4:5], v[12:13], v[24:25], v[4:5] op_sel:[0,0,1] op_sel_hi:[1,0,0] neg_lo:[0,0,1] neg_hi:[0,0,1]
	s_nop 0
	v_mov_b32_e32 v15, v5
	v_pk_add_f32 v[4:5], v[10:11], v[14:15] neg_lo:[0,1] neg_hi:[0,1]
	v_pk_add_f32 v[12:13], v[10:11], v[14:15]
	v_pk_mul_f32 v[4:5], v[4:5], s[6:7] op_sel_hi:[1,0]
	s_waitcnt lgkmcnt(0)
	v_pk_fma_f32 v[12:13], v[12:13], 0.5, v[8:9] op_sel_hi:[1,0,1] neg_lo:[1,0,0] neg_hi:[1,0,0]
	v_pk_add_f32 v[8:9], v[8:9], v[10:11]
	v_pk_add_f32 v[16:17], v[12:13], v[4:5] op_sel:[0,1] op_sel_hi:[1,0]
	v_pk_add_f32 v[4:5], v[12:13], v[4:5] op_sel:[0,1] op_sel_hi:[1,0] neg_lo:[0,1] neg_hi:[0,1]
	v_pk_add_f32 v[8:9], v[8:9], v[14:15]
	global_store_dwordx2 v[0:1], v[8:9], off
	v_mov_b32_e32 v0, v4
	v_mov_b32_e32 v1, v17
	;; [unrolled: 1-line block ×3, first 2 shown]
	global_store_dwordx2 v[6:7], v[0:1], off
	global_store_dwordx2 v[2:3], v[16:17], off
.LBB0_17:
	s_endpgm
	.section	.rodata,"a",@progbits
	.p2align	6, 0x0
	.amdhsa_kernel fft_rtc_back_len243_factors_3_3_3_3_3_wgs_216_tpt_27_sp_op_CI_CI_sbrc_unaligned_dirReg
		.amdhsa_group_segment_fixed_size 0
		.amdhsa_private_segment_fixed_size 0
		.amdhsa_kernarg_size 104
		.amdhsa_user_sgpr_count 2
		.amdhsa_user_sgpr_dispatch_ptr 0
		.amdhsa_user_sgpr_queue_ptr 0
		.amdhsa_user_sgpr_kernarg_segment_ptr 1
		.amdhsa_user_sgpr_dispatch_id 0
		.amdhsa_user_sgpr_kernarg_preload_length 0
		.amdhsa_user_sgpr_kernarg_preload_offset 0
		.amdhsa_user_sgpr_private_segment_size 0
		.amdhsa_uses_dynamic_stack 0
		.amdhsa_enable_private_segment 0
		.amdhsa_system_sgpr_workgroup_id_x 1
		.amdhsa_system_sgpr_workgroup_id_y 0
		.amdhsa_system_sgpr_workgroup_id_z 0
		.amdhsa_system_sgpr_workgroup_info 0
		.amdhsa_system_vgpr_workitem_id 0
		.amdhsa_next_free_vgpr 55
		.amdhsa_next_free_sgpr 45
		.amdhsa_accum_offset 56
		.amdhsa_reserve_vcc 1
		.amdhsa_float_round_mode_32 0
		.amdhsa_float_round_mode_16_64 0
		.amdhsa_float_denorm_mode_32 3
		.amdhsa_float_denorm_mode_16_64 3
		.amdhsa_dx10_clamp 1
		.amdhsa_ieee_mode 1
		.amdhsa_fp16_overflow 0
		.amdhsa_tg_split 0
		.amdhsa_exception_fp_ieee_invalid_op 0
		.amdhsa_exception_fp_denorm_src 0
		.amdhsa_exception_fp_ieee_div_zero 0
		.amdhsa_exception_fp_ieee_overflow 0
		.amdhsa_exception_fp_ieee_underflow 0
		.amdhsa_exception_fp_ieee_inexact 0
		.amdhsa_exception_int_div_zero 0
	.end_amdhsa_kernel
	.text
.Lfunc_end0:
	.size	fft_rtc_back_len243_factors_3_3_3_3_3_wgs_216_tpt_27_sp_op_CI_CI_sbrc_unaligned_dirReg, .Lfunc_end0-fft_rtc_back_len243_factors_3_3_3_3_3_wgs_216_tpt_27_sp_op_CI_CI_sbrc_unaligned_dirReg
                                        ; -- End function
	.section	.AMDGPU.csdata,"",@progbits
; Kernel info:
; codeLenInByte = 6112
; NumSgprs: 51
; NumVgprs: 55
; NumAgprs: 0
; TotalNumVgprs: 55
; ScratchSize: 0
; MemoryBound: 0
; FloatMode: 240
; IeeeMode: 1
; LDSByteSize: 0 bytes/workgroup (compile time only)
; SGPRBlocks: 6
; VGPRBlocks: 6
; NumSGPRsForWavesPerEU: 51
; NumVGPRsForWavesPerEU: 55
; AccumOffset: 56
; Occupancy: 8
; WaveLimiterHint : 1
; COMPUTE_PGM_RSRC2:SCRATCH_EN: 0
; COMPUTE_PGM_RSRC2:USER_SGPR: 2
; COMPUTE_PGM_RSRC2:TRAP_HANDLER: 0
; COMPUTE_PGM_RSRC2:TGID_X_EN: 1
; COMPUTE_PGM_RSRC2:TGID_Y_EN: 0
; COMPUTE_PGM_RSRC2:TGID_Z_EN: 0
; COMPUTE_PGM_RSRC2:TIDIG_COMP_CNT: 0
; COMPUTE_PGM_RSRC3_GFX90A:ACCUM_OFFSET: 13
; COMPUTE_PGM_RSRC3_GFX90A:TG_SPLIT: 0
	.text
	.p2alignl 6, 3212836864
	.fill 256, 4, 3212836864
	.type	__hip_cuid_24927eb4fbe3db2,@object ; @__hip_cuid_24927eb4fbe3db2
	.section	.bss,"aw",@nobits
	.globl	__hip_cuid_24927eb4fbe3db2
__hip_cuid_24927eb4fbe3db2:
	.byte	0                               ; 0x0
	.size	__hip_cuid_24927eb4fbe3db2, 1

	.ident	"AMD clang version 19.0.0git (https://github.com/RadeonOpenCompute/llvm-project roc-6.4.0 25133 c7fe45cf4b819c5991fe208aaa96edf142730f1d)"
	.section	".note.GNU-stack","",@progbits
	.addrsig
	.addrsig_sym __hip_cuid_24927eb4fbe3db2
	.amdgpu_metadata
---
amdhsa.kernels:
  - .agpr_count:     0
    .args:
      - .actual_access:  read_only
        .address_space:  global
        .offset:         0
        .size:           8
        .value_kind:     global_buffer
      - .offset:         8
        .size:           8
        .value_kind:     by_value
      - .actual_access:  read_only
        .address_space:  global
        .offset:         16
        .size:           8
        .value_kind:     global_buffer
      - .actual_access:  read_only
        .address_space:  global
        .offset:         24
        .size:           8
        .value_kind:     global_buffer
      - .actual_access:  read_only
        .address_space:  global
        .offset:         32
        .size:           8
        .value_kind:     global_buffer
      - .offset:         40
        .size:           8
        .value_kind:     by_value
      - .actual_access:  read_only
        .address_space:  global
        .offset:         48
        .size:           8
        .value_kind:     global_buffer
      - .actual_access:  read_only
        .address_space:  global
        .offset:         56
        .size:           8
        .value_kind:     global_buffer
      - .offset:         64
        .size:           4
        .value_kind:     by_value
      - .actual_access:  read_only
        .address_space:  global
        .offset:         72
        .size:           8
        .value_kind:     global_buffer
      - .actual_access:  read_only
        .address_space:  global
        .offset:         80
        .size:           8
        .value_kind:     global_buffer
      - .actual_access:  read_only
        .address_space:  global
        .offset:         88
        .size:           8
        .value_kind:     global_buffer
      - .actual_access:  write_only
        .address_space:  global
        .offset:         96
        .size:           8
        .value_kind:     global_buffer
    .group_segment_fixed_size: 0
    .kernarg_segment_align: 8
    .kernarg_segment_size: 104
    .language:       OpenCL C
    .language_version:
      - 2
      - 0
    .max_flat_workgroup_size: 216
    .name:           fft_rtc_back_len243_factors_3_3_3_3_3_wgs_216_tpt_27_sp_op_CI_CI_sbrc_unaligned_dirReg
    .private_segment_fixed_size: 0
    .sgpr_count:     51
    .sgpr_spill_count: 0
    .symbol:         fft_rtc_back_len243_factors_3_3_3_3_3_wgs_216_tpt_27_sp_op_CI_CI_sbrc_unaligned_dirReg.kd
    .uniform_work_group_size: 1
    .uses_dynamic_stack: false
    .vgpr_count:     55
    .vgpr_spill_count: 0
    .wavefront_size: 64
amdhsa.target:   amdgcn-amd-amdhsa--gfx950
amdhsa.version:
  - 1
  - 2
...

	.end_amdgpu_metadata
